;; amdgpu-corpus repo=ROCm/rocFFT kind=compiled arch=gfx906 opt=O3
	.text
	.amdgcn_target "amdgcn-amd-amdhsa--gfx906"
	.amdhsa_code_object_version 6
	.protected	fft_rtc_fwd_len792_factors_2_2_2_3_3_11_wgs_176_tpt_88_dp_op_CI_CI_unitstride_sbrr_R2C_dirReg ; -- Begin function fft_rtc_fwd_len792_factors_2_2_2_3_3_11_wgs_176_tpt_88_dp_op_CI_CI_unitstride_sbrr_R2C_dirReg
	.globl	fft_rtc_fwd_len792_factors_2_2_2_3_3_11_wgs_176_tpt_88_dp_op_CI_CI_unitstride_sbrr_R2C_dirReg
	.p2align	8
	.type	fft_rtc_fwd_len792_factors_2_2_2_3_3_11_wgs_176_tpt_88_dp_op_CI_CI_unitstride_sbrr_R2C_dirReg,@function
fft_rtc_fwd_len792_factors_2_2_2_3_3_11_wgs_176_tpt_88_dp_op_CI_CI_unitstride_sbrr_R2C_dirReg: ; @fft_rtc_fwd_len792_factors_2_2_2_3_3_11_wgs_176_tpt_88_dp_op_CI_CI_unitstride_sbrr_R2C_dirReg
; %bb.0:
	s_load_dwordx4 s[8:11], s[4:5], 0x58
	s_load_dwordx4 s[12:15], s[4:5], 0x0
	;; [unrolled: 1-line block ×3, first 2 shown]
	v_mul_u32_u24_e32 v1, 0x2e9, v0
	v_lshrrev_b32_e32 v7, 16, v1
	v_mov_b32_e32 v3, 0
	s_waitcnt lgkmcnt(0)
	v_cmp_lt_u64_e64 s[0:1], s[14:15], 2
	v_mov_b32_e32 v1, 0
	v_lshl_add_u32 v5, s6, 1, v7
	v_mov_b32_e32 v6, v3
	s_and_b64 vcc, exec, s[0:1]
	v_mov_b32_e32 v2, 0
	s_cbranch_vccnz .LBB0_8
; %bb.1:
	s_load_dwordx2 s[0:1], s[4:5], 0x10
	s_add_u32 s2, s18, 8
	s_addc_u32 s3, s19, 0
	s_add_u32 s6, s16, 8
	v_mov_b32_e32 v1, 0
	s_addc_u32 s7, s17, 0
	v_mov_b32_e32 v2, 0
	s_waitcnt lgkmcnt(0)
	s_add_u32 s20, s0, 8
	v_mov_b32_e32 v45, v2
	s_addc_u32 s21, s1, 0
	s_mov_b64 s[22:23], 1
	v_mov_b32_e32 v44, v1
.LBB0_2:                                ; =>This Inner Loop Header: Depth=1
	s_load_dwordx2 s[24:25], s[20:21], 0x0
                                        ; implicit-def: $vgpr46_vgpr47
	s_waitcnt lgkmcnt(0)
	v_or_b32_e32 v4, s25, v6
	v_cmp_ne_u64_e32 vcc, 0, v[3:4]
	s_and_saveexec_b64 s[0:1], vcc
	s_xor_b64 s[26:27], exec, s[0:1]
	s_cbranch_execz .LBB0_4
; %bb.3:                                ;   in Loop: Header=BB0_2 Depth=1
	v_cvt_f32_u32_e32 v4, s24
	v_cvt_f32_u32_e32 v8, s25
	s_sub_u32 s0, 0, s24
	s_subb_u32 s1, 0, s25
	v_mac_f32_e32 v4, 0x4f800000, v8
	v_rcp_f32_e32 v4, v4
	v_mul_f32_e32 v4, 0x5f7ffffc, v4
	v_mul_f32_e32 v8, 0x2f800000, v4
	v_trunc_f32_e32 v8, v8
	v_mac_f32_e32 v4, 0xcf800000, v8
	v_cvt_u32_f32_e32 v8, v8
	v_cvt_u32_f32_e32 v4, v4
	v_mul_lo_u32 v9, s0, v8
	v_mul_hi_u32 v10, s0, v4
	v_mul_lo_u32 v12, s1, v4
	v_mul_lo_u32 v11, s0, v4
	v_add_u32_e32 v9, v10, v9
	v_add_u32_e32 v9, v9, v12
	v_mul_hi_u32 v10, v4, v11
	v_mul_lo_u32 v12, v4, v9
	v_mul_hi_u32 v14, v4, v9
	v_mul_hi_u32 v13, v8, v11
	v_mul_lo_u32 v11, v8, v11
	v_mul_hi_u32 v15, v8, v9
	v_add_co_u32_e32 v10, vcc, v10, v12
	v_addc_co_u32_e32 v12, vcc, 0, v14, vcc
	v_mul_lo_u32 v9, v8, v9
	v_add_co_u32_e32 v10, vcc, v10, v11
	v_addc_co_u32_e32 v10, vcc, v12, v13, vcc
	v_addc_co_u32_e32 v11, vcc, 0, v15, vcc
	v_add_co_u32_e32 v9, vcc, v10, v9
	v_addc_co_u32_e32 v10, vcc, 0, v11, vcc
	v_add_co_u32_e32 v4, vcc, v4, v9
	v_addc_co_u32_e32 v8, vcc, v8, v10, vcc
	v_mul_lo_u32 v9, s0, v8
	v_mul_hi_u32 v10, s0, v4
	v_mul_lo_u32 v11, s1, v4
	v_mul_lo_u32 v12, s0, v4
	v_add_u32_e32 v9, v10, v9
	v_add_u32_e32 v9, v9, v11
	v_mul_lo_u32 v13, v4, v9
	v_mul_hi_u32 v14, v4, v12
	v_mul_hi_u32 v15, v4, v9
	;; [unrolled: 1-line block ×3, first 2 shown]
	v_mul_lo_u32 v12, v8, v12
	v_mul_hi_u32 v10, v8, v9
	v_add_co_u32_e32 v13, vcc, v14, v13
	v_addc_co_u32_e32 v14, vcc, 0, v15, vcc
	v_mul_lo_u32 v9, v8, v9
	v_add_co_u32_e32 v12, vcc, v13, v12
	v_addc_co_u32_e32 v11, vcc, v14, v11, vcc
	v_addc_co_u32_e32 v10, vcc, 0, v10, vcc
	v_add_co_u32_e32 v9, vcc, v11, v9
	v_addc_co_u32_e32 v10, vcc, 0, v10, vcc
	v_add_co_u32_e32 v4, vcc, v4, v9
	v_addc_co_u32_e32 v10, vcc, v8, v10, vcc
	v_mad_u64_u32 v[8:9], s[0:1], v5, v10, 0
	v_mul_hi_u32 v11, v5, v4
	v_add_co_u32_e32 v12, vcc, v11, v8
	v_addc_co_u32_e32 v13, vcc, 0, v9, vcc
	v_mad_u64_u32 v[8:9], s[0:1], v6, v4, 0
	v_mad_u64_u32 v[10:11], s[0:1], v6, v10, 0
	v_add_co_u32_e32 v4, vcc, v12, v8
	v_addc_co_u32_e32 v4, vcc, v13, v9, vcc
	v_addc_co_u32_e32 v8, vcc, 0, v11, vcc
	v_add_co_u32_e32 v4, vcc, v4, v10
	v_addc_co_u32_e32 v10, vcc, 0, v8, vcc
	v_mul_lo_u32 v11, s25, v4
	v_mul_lo_u32 v12, s24, v10
	v_mad_u64_u32 v[8:9], s[0:1], s24, v4, 0
	v_add3_u32 v9, v9, v12, v11
	v_sub_u32_e32 v11, v6, v9
	v_mov_b32_e32 v12, s25
	v_sub_co_u32_e32 v8, vcc, v5, v8
	v_subb_co_u32_e64 v11, s[0:1], v11, v12, vcc
	v_subrev_co_u32_e64 v12, s[0:1], s24, v8
	v_subbrev_co_u32_e64 v11, s[0:1], 0, v11, s[0:1]
	v_cmp_le_u32_e64 s[0:1], s25, v11
	v_cndmask_b32_e64 v13, 0, -1, s[0:1]
	v_cmp_le_u32_e64 s[0:1], s24, v12
	v_cndmask_b32_e64 v12, 0, -1, s[0:1]
	v_cmp_eq_u32_e64 s[0:1], s25, v11
	v_cndmask_b32_e64 v11, v13, v12, s[0:1]
	v_add_co_u32_e64 v12, s[0:1], 2, v4
	v_addc_co_u32_e64 v13, s[0:1], 0, v10, s[0:1]
	v_add_co_u32_e64 v14, s[0:1], 1, v4
	v_addc_co_u32_e64 v15, s[0:1], 0, v10, s[0:1]
	v_subb_co_u32_e32 v9, vcc, v6, v9, vcc
	v_cmp_ne_u32_e64 s[0:1], 0, v11
	v_cmp_le_u32_e32 vcc, s25, v9
	v_cndmask_b32_e64 v11, v15, v13, s[0:1]
	v_cndmask_b32_e64 v13, 0, -1, vcc
	v_cmp_le_u32_e32 vcc, s24, v8
	v_cndmask_b32_e64 v8, 0, -1, vcc
	v_cmp_eq_u32_e32 vcc, s25, v9
	v_cndmask_b32_e32 v8, v13, v8, vcc
	v_cmp_ne_u32_e32 vcc, 0, v8
	v_cndmask_b32_e64 v8, v14, v12, s[0:1]
	v_cndmask_b32_e32 v47, v10, v11, vcc
	v_cndmask_b32_e32 v46, v4, v8, vcc
.LBB0_4:                                ;   in Loop: Header=BB0_2 Depth=1
	s_andn2_saveexec_b64 s[0:1], s[26:27]
	s_cbranch_execz .LBB0_6
; %bb.5:                                ;   in Loop: Header=BB0_2 Depth=1
	v_cvt_f32_u32_e32 v4, s24
	s_sub_i32 s26, 0, s24
	v_mov_b32_e32 v47, v3
	v_rcp_iflag_f32_e32 v4, v4
	v_mul_f32_e32 v4, 0x4f7ffffe, v4
	v_cvt_u32_f32_e32 v4, v4
	v_mul_lo_u32 v8, s26, v4
	v_mul_hi_u32 v8, v4, v8
	v_add_u32_e32 v4, v4, v8
	v_mul_hi_u32 v4, v5, v4
	v_mul_lo_u32 v8, v4, s24
	v_add_u32_e32 v9, 1, v4
	v_sub_u32_e32 v8, v5, v8
	v_subrev_u32_e32 v10, s24, v8
	v_cmp_le_u32_e32 vcc, s24, v8
	v_cndmask_b32_e32 v8, v8, v10, vcc
	v_cndmask_b32_e32 v4, v4, v9, vcc
	v_add_u32_e32 v9, 1, v4
	v_cmp_le_u32_e32 vcc, s24, v8
	v_cndmask_b32_e32 v46, v4, v9, vcc
.LBB0_6:                                ;   in Loop: Header=BB0_2 Depth=1
	s_or_b64 exec, exec, s[0:1]
	v_mul_lo_u32 v4, v47, s24
	v_mul_lo_u32 v10, v46, s25
	v_mad_u64_u32 v[8:9], s[0:1], v46, s24, 0
	s_load_dwordx2 s[0:1], s[6:7], 0x0
	s_load_dwordx2 s[24:25], s[2:3], 0x0
	v_add3_u32 v4, v9, v10, v4
	v_sub_co_u32_e32 v5, vcc, v5, v8
	v_subb_co_u32_e32 v4, vcc, v6, v4, vcc
	s_waitcnt lgkmcnt(0)
	v_mul_lo_u32 v6, s0, v4
	v_mul_lo_u32 v8, s1, v5
	v_mad_u64_u32 v[1:2], s[0:1], s0, v5, v[1:2]
	v_mul_lo_u32 v4, s24, v4
	v_mul_lo_u32 v9, s25, v5
	v_mad_u64_u32 v[44:45], s[0:1], s24, v5, v[44:45]
	s_add_u32 s22, s22, 1
	s_addc_u32 s23, s23, 0
	s_add_u32 s2, s2, 8
	v_add3_u32 v45, v9, v45, v4
	s_addc_u32 s3, s3, 0
	v_mov_b32_e32 v4, s14
	s_add_u32 s6, s6, 8
	v_mov_b32_e32 v5, s15
	s_addc_u32 s7, s7, 0
	v_cmp_ge_u64_e32 vcc, s[22:23], v[4:5]
	s_add_u32 s20, s20, 8
	v_add3_u32 v2, v8, v2, v6
	s_addc_u32 s21, s21, 0
	s_cbranch_vccnz .LBB0_9
; %bb.7:                                ;   in Loop: Header=BB0_2 Depth=1
	v_mov_b32_e32 v5, v46
	v_mov_b32_e32 v6, v47
	s_branch .LBB0_2
.LBB0_8:
	v_mov_b32_e32 v45, v2
	v_mov_b32_e32 v47, v6
	;; [unrolled: 1-line block ×4, first 2 shown]
.LBB0_9:
	s_load_dwordx2 s[2:3], s[4:5], 0x28
	s_lshl_b64 s[6:7], s[14:15], 3
	s_add_u32 s4, s18, s6
	v_and_b32_e32 v3, 1, v7
	s_addc_u32 s5, s19, s7
	s_waitcnt lgkmcnt(0)
	v_cmp_gt_u64_e64 s[0:1], s[2:3], v[46:47]
	v_cmp_le_u64_e64 s[2:3], s[2:3], v[46:47]
	v_cmp_eq_u32_e32 vcc, 1, v3
	v_mov_b32_e32 v3, 0x319
                                        ; implicit-def: $vgpr48
                                        ; implicit-def: $vgpr51
                                        ; implicit-def: $vgpr55
                                        ; implicit-def: $vgpr53
                                        ; implicit-def: $vgpr50
	s_and_saveexec_b64 s[14:15], s[2:3]
	s_xor_b64 s[2:3], exec, s[14:15]
; %bb.10:
	s_mov_b32 s14, 0x2e8ba2f
	v_mul_hi_u32 v1, v0, s14
	v_mul_u32_u24_e32 v1, 0x58, v1
	v_sub_u32_e32 v48, v0, v1
	v_add_u32_e32 v51, 0x58, v48
	v_add_u32_e32 v55, 0xb0, v48
	;; [unrolled: 1-line block ×4, first 2 shown]
                                        ; implicit-def: $vgpr0
                                        ; implicit-def: $vgpr1_vgpr2
; %bb.11:
	s_or_saveexec_b64 s[2:3], s[2:3]
	v_cndmask_b32_e32 v3, 0, v3, vcc
	v_lshlrev_b32_e32 v40, 4, v3
	s_xor_b64 exec, exec, s[2:3]
	s_cbranch_execz .LBB0_13
; %bb.12:
	s_add_u32 s6, s16, s6
	s_addc_u32 s7, s17, s7
	s_load_dwordx2 s[6:7], s[6:7], 0x0
	s_mov_b32 s14, 0x2e8ba2f
	v_mul_hi_u32 v5, v0, s14
	s_waitcnt lgkmcnt(0)
	v_mul_lo_u32 v6, s7, v46
	v_mul_lo_u32 v7, s6, v47
	v_mad_u64_u32 v[3:4], s[6:7], s6, v46, 0
	v_mul_u32_u24_e32 v5, 0x58, v5
	v_sub_u32_e32 v48, v0, v5
	v_add3_u32 v4, v4, v7, v6
	v_lshlrev_b64 v[3:4], 4, v[3:4]
	v_mov_b32_e32 v0, s9
	v_add_co_u32_e32 v3, vcc, s8, v3
	v_addc_co_u32_e32 v4, vcc, v0, v4, vcc
	v_lshlrev_b64 v[0:1], 4, v[1:2]
	v_lshlrev_b32_e32 v41, 4, v48
	v_add_co_u32_e32 v0, vcc, v3, v0
	v_addc_co_u32_e32 v1, vcc, v4, v1, vcc
	v_add_co_u32_e32 v16, vcc, v0, v41
	v_addc_co_u32_e32 v17, vcc, 0, v1, vcc
	s_movk_i32 s6, 0x1000
	v_add_co_u32_e32 v36, vcc, s6, v16
	v_addc_co_u32_e32 v37, vcc, 0, v17, vcc
	v_add_co_u32_e32 v38, vcc, 0x2000, v16
	global_load_dwordx4 v[0:3], v[16:17], off
	global_load_dwordx4 v[4:7], v[16:17], off offset:1408
	global_load_dwordx4 v[8:11], v[16:17], off offset:2816
	;; [unrolled: 1-line block ×3, first 2 shown]
	v_addc_co_u32_e32 v39, vcc, 0, v17, vcc
	global_load_dwordx4 v[16:19], v[36:37], off offset:1536
	global_load_dwordx4 v[20:23], v[36:37], off offset:2944
	global_load_dwordx4 v[24:27], v[38:39], off offset:256
	global_load_dwordx4 v[28:31], v[38:39], off offset:1664
	global_load_dwordx4 v[32:35], v[38:39], off offset:3072
	v_add_u32_e32 v51, 0x58, v48
	v_add_u32_e32 v55, 0xb0, v48
	v_add_u32_e32 v53, 0x108, v48
	v_add_u32_e32 v50, 0x160, v48
	v_add3_u32 v36, 0, v40, v41
	s_waitcnt vmcnt(8)
	ds_write_b128 v36, v[0:3]
	s_waitcnt vmcnt(7)
	ds_write_b128 v36, v[4:7] offset:1408
	s_waitcnt vmcnt(6)
	ds_write_b128 v36, v[8:11] offset:2816
	;; [unrolled: 2-line block ×8, first 2 shown]
.LBB0_13:
	s_or_b64 exec, exec, s[2:3]
	v_lshlrev_b32_e32 v49, 4, v48
	v_add_u32_e32 v96, 0, v40
	v_add3_u32 v52, 0, v49, v40
	s_load_dwordx2 s[4:5], s[4:5], 0x0
	s_waitcnt lgkmcnt(0)
	s_barrier
	v_add_u32_e32 v54, v96, v49
	ds_read_b128 v[0:3], v52 offset:6336
	ds_read_b128 v[4:7], v54
	ds_read_b128 v[8:11], v52 offset:1408
	ds_read_b128 v[14:17], v52 offset:5632
	;; [unrolled: 1-line block ×4, first 2 shown]
	s_waitcnt lgkmcnt(4)
	v_add_f64 v[0:1], v[4:5], -v[0:1]
	v_add_f64 v[2:3], v[6:7], -v[2:3]
	ds_read_b128 v[26:29], v52 offset:2816
	ds_read_b128 v[30:33], v52 offset:4224
	;; [unrolled: 1-line block ×4, first 2 shown]
	s_waitcnt lgkmcnt(5)
	v_add_f64 v[18:19], v[8:9], -v[18:19]
	v_add_f64 v[20:21], v[10:11], -v[20:21]
	v_add_u32_e32 v12, v52, v49
	s_waitcnt lgkmcnt(0)
	s_barrier
	v_fma_f64 v[4:5], v[4:5], 2.0, -v[0:1]
	v_fma_f64 v[6:7], v[6:7], 2.0, -v[2:3]
	v_fma_f64 v[8:9], v[8:9], 2.0, -v[18:19]
	v_fma_f64 v[10:11], v[10:11], 2.0, -v[20:21]
	ds_write_b128 v12, v[0:3] offset:16
	v_add_f64 v[22:23], v[26:27], -v[22:23]
	v_add_f64 v[24:25], v[28:29], -v[24:25]
	v_lshl_add_u32 v13, v55, 5, 0
	ds_write_b128 v12, v[4:7]
	v_lshl_add_u32 v12, v51, 5, 0
	v_add_u32_e32 v0, v12, v40
	ds_write_b128 v0, v[8:11]
	v_add_f64 v[8:9], v[30:31], -v[34:35]
	v_add_f64 v[10:11], v[32:33], -v[36:37]
	;; [unrolled: 1-line block ×4, first 2 shown]
	v_fma_f64 v[26:27], v[26:27], 2.0, -v[22:23]
	v_fma_f64 v[28:29], v[28:29], 2.0, -v[24:25]
	ds_write_b128 v0, v[18:21] offset:16
	v_cmp_gt_u32_e32 vcc, 44, v48
	v_fma_f64 v[18:19], v[30:31], 2.0, -v[8:9]
	v_fma_f64 v[20:21], v[32:33], 2.0, -v[10:11]
	;; [unrolled: 1-line block ×4, first 2 shown]
	v_lshl_add_u32 v14, v53, 5, 0
	v_add_u32_e32 v30, v13, v40
	v_add_u32_e32 v15, v14, v40
	ds_write_b128 v30, v[26:29]
	ds_write_b128 v30, v[22:25] offset:16
	ds_write_b128 v15, v[18:21]
	ds_write_b128 v15, v[8:11] offset:16
	s_and_saveexec_b64 s[2:3], vcc
	s_cbranch_execz .LBB0_15
; %bb.14:
	v_lshlrev_b32_e32 v8, 5, v50
	v_add3_u32 v8, 0, v8, v40
	ds_write_b128 v8, v[0:3]
	ds_write_b128 v8, v[4:7] offset:16
.LBB0_15:
	s_or_b64 exec, exec, s[2:3]
	v_lshlrev_b32_e32 v15, 4, v51
	v_sub_u32_e32 v12, v12, v15
	v_add_u32_e32 v41, v12, v40
	v_lshlrev_b32_e32 v12, 4, v55
	v_sub_u32_e32 v12, v13, v12
	v_add_u32_e32 v42, v12, v40
	v_lshlrev_b32_e32 v12, 4, v53
	v_sub_u32_e32 v12, v14, v12
	s_waitcnt lgkmcnt(0)
	s_barrier
	ds_read_b128 v[8:11], v54
	ds_read_b128 v[24:27], v52 offset:6336
	ds_read_b128 v[28:31], v52 offset:7744
	ds_read_b128 v[32:35], v52 offset:9152
	v_add_u32_e32 v43, v12, v40
	ds_read_b128 v[16:19], v42
	ds_read_b128 v[12:15], v43
	;; [unrolled: 1-line block ×3, first 2 shown]
	ds_read_b128 v[36:39], v52 offset:10560
	v_lshlrev_b32_e32 v59, 1, v51
	v_lshlrev_b32_e32 v58, 1, v55
	;; [unrolled: 1-line block ×4, first 2 shown]
	s_and_saveexec_b64 s[2:3], vcc
	s_cbranch_execz .LBB0_17
; %bb.16:
	v_add3_u32 v0, 0, v56, v40
	ds_read_b128 v[0:3], v0
	ds_read_b128 v[4:7], v52 offset:11968
.LBB0_17:
	s_or_b64 exec, exec, s[2:3]
	v_and_b32_e32 v62, 1, v48
	v_lshlrev_b32_e32 v60, 4, v62
	global_load_dwordx4 v[63:66], v60, s[12:13]
	s_movk_i32 s3, 0x1fc
	s_movk_i32 s6, 0x3fc
	v_and_or_b32 v67, v59, s3, v62
	v_and_or_b32 v68, v58, s6, v62
	;; [unrolled: 1-line block ×3, first 2 shown]
	v_lshlrev_b32_e32 v67, 4, v67
	v_lshlrev_b32_e32 v68, 4, v68
	;; [unrolled: 1-line block ×3, first 2 shown]
	v_add3_u32 v85, 0, v67, v40
	v_add3_u32 v86, 0, v68, v40
	;; [unrolled: 1-line block ×3, first 2 shown]
	v_lshlrev_b32_e32 v60, 1, v48
	s_movk_i32 s2, 0xfc
	v_and_or_b32 v61, v60, s2, v62
	v_lshlrev_b32_e32 v61, 4, v61
	v_add3_u32 v61, 0, v61, v40
	s_waitcnt vmcnt(0) lgkmcnt(0)
	s_barrier
	v_mul_f64 v[67:68], v[26:27], v[65:66]
	v_mul_f64 v[69:70], v[24:25], v[65:66]
	;; [unrolled: 1-line block ×10, first 2 shown]
	v_fma_f64 v[24:25], v[24:25], v[63:64], -v[67:68]
	v_fma_f64 v[26:27], v[26:27], v[63:64], v[69:70]
	v_fma_f64 v[67:68], v[28:29], v[63:64], -v[71:72]
	v_fma_f64 v[69:70], v[30:31], v[63:64], v[73:74]
	;; [unrolled: 2-line block ×5, first 2 shown]
	v_add_f64 v[28:29], v[8:9], -v[24:25]
	v_add_f64 v[30:31], v[10:11], -v[26:27]
	;; [unrolled: 1-line block ×10, first 2 shown]
	v_fma_f64 v[8:9], v[8:9], 2.0, -v[28:29]
	v_fma_f64 v[10:11], v[10:11], 2.0, -v[30:31]
	;; [unrolled: 1-line block ×10, first 2 shown]
	ds_write_b128 v61, v[28:31] offset:32
	ds_write_b128 v61, v[8:11]
	ds_write_b128 v85, v[20:23]
	ds_write_b128 v85, v[32:35] offset:32
	ds_write_b128 v86, v[16:19]
	ds_write_b128 v86, v[36:39] offset:32
	;; [unrolled: 2-line block ×3, first 2 shown]
	v_lshlrev_b32_e32 v61, 1, v50
	s_and_saveexec_b64 s[2:3], vcc
	s_cbranch_execz .LBB0_19
; %bb.18:
	v_and_or_b32 v0, v61, s6, v62
	v_lshlrev_b32_e32 v0, 4, v0
	v_add3_u32 v0, 0, v0, v40
	ds_write_b128 v0, v[4:7]
	ds_write_b128 v0, v[24:27] offset:32
.LBB0_19:
	s_or_b64 exec, exec, s[2:3]
	s_waitcnt lgkmcnt(0)
	s_barrier
	ds_read_b128 v[12:15], v54
	ds_read_b128 v[36:39], v52 offset:6336
	ds_read_b128 v[32:35], v52 offset:7744
	ds_read_b128 v[20:23], v52 offset:9152
	ds_read_b128 v[8:11], v42
	ds_read_b128 v[0:3], v43
	;; [unrolled: 1-line block ×3, first 2 shown]
	ds_read_b128 v[28:31], v52 offset:10560
	s_and_saveexec_b64 s[2:3], vcc
	s_cbranch_execz .LBB0_21
; %bb.20:
	v_add3_u32 v4, 0, v56, v40
	ds_read_b128 v[4:7], v4
	ds_read_b128 v[24:27], v52 offset:11968
.LBB0_21:
	s_or_b64 exec, exec, s[2:3]
	v_and_b32_e32 v62, 3, v48
	v_lshlrev_b32_e32 v63, 4, v62
	global_load_dwordx4 v[63:66], v63, s[12:13] offset:32
	s_movk_i32 s2, 0xf8
	v_and_or_b32 v60, v60, s2, v62
	v_lshlrev_b32_e32 v60, 4, v60
	v_add3_u32 v60, 0, v60, v40
	s_movk_i32 s2, 0x1f8
	s_waitcnt vmcnt(0) lgkmcnt(0)
	s_barrier
	s_movk_i32 s6, 0x3f8
	v_mul_f64 v[67:68], v[38:39], v[65:66]
	v_fma_f64 v[67:68], v[36:37], v[63:64], -v[67:68]
	v_mul_f64 v[36:37], v[36:37], v[65:66]
	v_fma_f64 v[36:37], v[38:39], v[63:64], v[36:37]
	v_mul_f64 v[38:39], v[34:35], v[65:66]
	v_fma_f64 v[38:39], v[32:33], v[63:64], -v[38:39]
	v_mul_f64 v[32:33], v[32:33], v[65:66]
	v_fma_f64 v[32:33], v[34:35], v[63:64], v[32:33]
	;; [unrolled: 4-line block ×3, first 2 shown]
	v_mul_f64 v[20:21], v[30:31], v[65:66]
	v_add_f64 v[22:23], v[14:15], -v[36:37]
	v_fma_f64 v[71:72], v[28:29], v[63:64], -v[20:21]
	v_mul_f64 v[20:21], v[28:29], v[65:66]
	v_add_f64 v[28:29], v[8:9], -v[34:35]
	v_fma_f64 v[14:15], v[14:15], 2.0, -v[22:23]
	v_fma_f64 v[73:74], v[30:31], v[63:64], v[20:21]
	v_mul_f64 v[20:21], v[26:27], v[65:66]
	v_add_f64 v[30:31], v[10:11], -v[69:70]
	v_fma_f64 v[8:9], v[8:9], 2.0, -v[28:29]
	v_add_f64 v[34:35], v[2:3], -v[73:74]
	v_fma_f64 v[75:76], v[24:25], v[63:64], -v[20:21]
	v_mul_f64 v[20:21], v[24:25], v[65:66]
	v_add_f64 v[24:25], v[16:17], -v[38:39]
	v_fma_f64 v[10:11], v[10:11], 2.0, -v[30:31]
	v_fma_f64 v[38:39], v[2:3], 2.0, -v[34:35]
	v_fma_f64 v[63:64], v[26:27], v[63:64], v[20:21]
	v_add_f64 v[20:21], v[12:13], -v[67:68]
	v_add_f64 v[26:27], v[18:19], -v[32:33]
	;; [unrolled: 1-line block ×3, first 2 shown]
	v_fma_f64 v[16:17], v[16:17], 2.0, -v[24:25]
	v_add_f64 v[2:3], v[6:7], -v[63:64]
	v_fma_f64 v[12:13], v[12:13], 2.0, -v[20:21]
	v_fma_f64 v[18:19], v[18:19], 2.0, -v[26:27]
	ds_write_b128 v60, v[12:15]
	ds_write_b128 v60, v[20:23] offset:64
	v_and_or_b32 v12, v59, s2, v62
	v_fma_f64 v[36:37], v[0:1], 2.0, -v[32:33]
	v_add_f64 v[0:1], v[4:5], -v[75:76]
	v_lshlrev_b32_e32 v12, 4, v12
	v_add3_u32 v12, 0, v12, v40
	ds_write_b128 v12, v[16:19]
	ds_write_b128 v12, v[24:27] offset:64
	v_and_or_b32 v12, v58, s6, v62
	v_lshlrev_b32_e32 v12, 4, v12
	v_add3_u32 v12, 0, v12, v40
	ds_write_b128 v12, v[8:11]
	ds_write_b128 v12, v[28:31] offset:64
	v_and_or_b32 v8, v57, s6, v62
	v_lshlrev_b32_e32 v8, 4, v8
	v_add3_u32 v8, 0, v8, v40
	ds_write_b128 v8, v[36:39]
	ds_write_b128 v8, v[32:35] offset:64
	s_and_saveexec_b64 s[2:3], vcc
	s_cbranch_execz .LBB0_23
; %bb.22:
	v_fma_f64 v[6:7], v[6:7], 2.0, -v[2:3]
	v_fma_f64 v[4:5], v[4:5], 2.0, -v[0:1]
	v_and_or_b32 v8, v61, s6, v62
	v_lshlrev_b32_e32 v8, 4, v8
	v_add3_u32 v8, 0, v8, v40
	ds_write_b128 v8, v[4:7]
	ds_write_b128 v8, v[0:3] offset:64
.LBB0_23:
	s_or_b64 exec, exec, s[2:3]
	v_and_b32_e32 v39, 7, v48
	v_lshlrev_b32_e32 v4, 5, v39
	s_waitcnt lgkmcnt(0)
	s_barrier
	global_load_dwordx4 v[7:10], v4, s[12:13] offset:96
	global_load_dwordx4 v[11:14], v4, s[12:13] offset:112
	v_lshrrev_b32_e32 v6, 3, v51
	v_lshrrev_b32_e32 v68, 3, v55
	v_mul_lo_u32 v69, v6, 24
	v_mul_lo_u32 v68, v68, 24
	v_lshrrev_b32_e32 v5, 3, v48
	s_movk_i32 s8, 0xab
	v_add3_u32 v4, 0, v56, v40
	v_mul_u32_u24_e32 v5, 24, v5
	v_mul_lo_u16_sdwa v6, v48, s8 dst_sel:DWORD dst_unused:UNUSED_PAD src0_sel:BYTE_0 src1_sel:DWORD
	ds_read_b128 v[15:18], v52 offset:8448
	ds_read_b128 v[19:22], v52 offset:9856
	ds_read_b128 v[23:26], v43
	ds_read_b128 v[27:30], v42
	;; [unrolled: 1-line block ×3, first 2 shown]
	ds_read_b128 v[35:38], v52 offset:7040
	ds_read_b128 v[56:59], v41
	ds_read_b128 v[60:63], v52 offset:11264
	ds_read_b128 v[64:67], v4
	v_or_b32_e32 v70, v5, v39
	v_lshrrev_b16_e32 v5, 12, v6
	v_or_b32_e32 v69, v69, v39
	v_lshlrev_b32_e32 v6, 4, v70
	v_mul_lo_u16_e32 v70, 24, v5
	v_or_b32_e32 v39, v68, v39
	v_lshlrev_b32_e32 v68, 4, v69
	v_add3_u32 v89, 0, v6, v40
	v_sub_u16_e32 v6, v48, v70
	v_add3_u32 v90, 0, v68, v40
	s_mov_b32 s2, 0xe8584caa
	s_mov_b32 s3, 0x3febb67a
	;; [unrolled: 1-line block ×4, first 2 shown]
	v_mov_b32_e32 v88, 5
	v_lshlrev_b32_e32 v39, 4, v39
	s_waitcnt vmcnt(0) lgkmcnt(0)
	s_barrier
	v_add3_u32 v39, 0, v39, v40
	s_movk_i32 s9, 0x480
	v_mad_u32_u24 v5, v5, s9, 0
	v_mul_f64 v[68:69], v[25:26], v[9:10]
	v_mul_f64 v[70:71], v[23:24], v[9:10]
	;; [unrolled: 1-line block ×12, first 2 shown]
	v_fma_f64 v[23:24], v[23:24], v[7:8], -v[68:69]
	v_fma_f64 v[25:26], v[25:26], v[7:8], v[70:71]
	v_fma_f64 v[15:16], v[15:16], v[11:12], -v[72:73]
	v_fma_f64 v[17:18], v[17:18], v[11:12], v[74:75]
	;; [unrolled: 2-line block ×6, first 2 shown]
	v_add_f64 v[11:12], v[23:24], v[15:16]
	v_add_f64 v[62:63], v[25:26], -v[17:18]
	v_add_f64 v[13:14], v[33:34], v[25:26]
	v_add_f64 v[25:26], v[25:26], v[17:18]
	;; [unrolled: 1-line block ×3, first 2 shown]
	v_add_f64 v[72:73], v[66:67], -v[21:22]
	v_add_f64 v[74:75], v[58:59], v[66:67]
	v_add_f64 v[66:67], v[66:67], v[21:22]
	;; [unrolled: 1-line block ×6, first 2 shown]
	v_add_f64 v[68:69], v[23:24], -v[15:16]
	v_add_f64 v[23:24], v[56:57], v[64:65]
	v_fma_f64 v[31:32], v[11:12], -0.5, v[31:32]
	v_fma_f64 v[25:26], v[25:26], -0.5, v[33:34]
	v_add_f64 v[64:65], v[64:65], -v[19:20]
	v_add_f64 v[86:87], v[35:36], -v[37:38]
	v_fma_f64 v[33:34], v[70:71], -0.5, v[56:57]
	v_fma_f64 v[35:36], v[66:67], -0.5, v[58:59]
	v_add_f64 v[82:83], v[29:30], v[7:8]
	v_add_f64 v[80:81], v[7:8], -v[60:61]
	v_add_f64 v[7:8], v[9:10], v[15:16]
	v_add_f64 v[15:16], v[76:77], v[37:38]
	v_fma_f64 v[37:38], v[78:79], -0.5, v[27:28]
	v_fma_f64 v[58:59], v[84:85], -0.5, v[29:30]
	v_add_f64 v[9:10], v[13:14], v[17:18]
	v_add_f64 v[11:12], v[23:24], v[19:20]
	;; [unrolled: 1-line block ×3, first 2 shown]
	v_fma_f64 v[19:20], v[62:63], s[2:3], v[31:32]
	v_fma_f64 v[21:22], v[68:69], s[6:7], v[25:26]
	;; [unrolled: 1-line block ×8, first 2 shown]
	v_add_f64 v[17:18], v[82:83], v[60:61]
	v_fma_f64 v[35:36], v[80:81], s[2:3], v[37:38]
	v_fma_f64 v[56:57], v[80:81], s[6:7], v[37:38]
	;; [unrolled: 1-line block ×4, first 2 shown]
	ds_write_b128 v89, v[7:10]
	ds_write_b128 v89, v[19:22] offset:128
	ds_write_b128 v89, v[23:26] offset:256
	ds_write_b128 v90, v[11:14]
	ds_write_b128 v90, v[27:30] offset:128
	ds_write_b128 v90, v[31:34] offset:256
	;; [unrolled: 3-line block ×3, first 2 shown]
	v_lshlrev_b32_sdwa v15, v88, v6 dst_sel:DWORD dst_unused:UNUSED_PAD src0_sel:DWORD src1_sel:BYTE_0
	s_waitcnt lgkmcnt(0)
	s_barrier
	global_load_dwordx4 v[7:10], v15, s[12:13] offset:368
	global_load_dwordx4 v[11:14], v15, s[12:13] offset:352
	v_mul_lo_u16_sdwa v15, v51, s8 dst_sel:DWORD dst_unused:UNUSED_PAD src0_sel:BYTE_0 src1_sel:DWORD
	v_lshrrev_b16_e32 v31, 12, v15
	v_mul_lo_u16_e32 v15, 24, v31
	v_sub_u16_e32 v32, v51, v15
	v_lshlrev_b32_sdwa v23, v88, v32 dst_sel:DWORD dst_unused:UNUSED_PAD src0_sel:DWORD src1_sel:BYTE_0
	s_mov_b32 s8, 0xaaab
	global_load_dwordx4 v[15:18], v23, s[12:13] offset:368
	global_load_dwordx4 v[19:22], v23, s[12:13] offset:352
	v_mul_u32_u24_sdwa v23, v55, s8 dst_sel:DWORD dst_unused:UNUSED_PAD src0_sel:WORD_0 src1_sel:DWORD
	v_lshrrev_b32_e32 v33, 20, v23
	v_mul_lo_u16_e32 v23, 24, v33
	v_sub_u16_e32 v34, v55, v23
	v_lshlrev_b32_e32 v35, 5, v34
	global_load_dwordx4 v[23:26], v35, s[12:13] offset:352
	global_load_dwordx4 v[27:30], v35, s[12:13] offset:368
	v_mov_b32_e32 v35, 4
	v_mad_u32_u24 v31, v31, s9, 0
	v_mad_u32_u24 v33, v33, s9, 0
	v_lshlrev_b32_sdwa v6, v35, v6 dst_sel:DWORD dst_unused:UNUSED_PAD src0_sel:DWORD src1_sel:BYTE_0
	v_lshlrev_b32_sdwa v32, v35, v32 dst_sel:DWORD dst_unused:UNUSED_PAD src0_sel:DWORD src1_sel:BYTE_0
	v_lshlrev_b32_e32 v34, 4, v34
	v_add3_u32 v90, v5, v6, v40
	v_add3_u32 v91, v31, v32, v40
	;; [unrolled: 1-line block ×3, first 2 shown]
	ds_read_b128 v[31:34], v4
	ds_read_b128 v[35:38], v52 offset:8448
	ds_read_b128 v[56:59], v52 offset:9856
	ds_read_b128 v[60:63], v43
	ds_read_b128 v[64:67], v42
	;; [unrolled: 1-line block ×3, first 2 shown]
	ds_read_b128 v[72:75], v52 offset:7040
	ds_read_b128 v[39:42], v41
	ds_read_b128 v[76:79], v52 offset:11264
	s_movk_i32 s8, 0x48
	s_waitcnt vmcnt(0) lgkmcnt(0)
	s_barrier
	v_mul_f64 v[80:81], v[37:38], v[9:10]
	v_mul_f64 v[4:5], v[62:63], v[13:14]
	;; [unrolled: 1-line block ×8, first 2 shown]
	v_fma_f64 v[4:5], v[60:61], v[11:12], -v[4:5]
	v_fma_f64 v[11:12], v[62:63], v[11:12], v[13:14]
	v_mul_f64 v[86:87], v[74:75], v[25:26]
	v_mul_f64 v[25:26], v[72:73], v[25:26]
	;; [unrolled: 1-line block ×4, first 2 shown]
	v_fma_f64 v[13:14], v[35:36], v[7:8], -v[80:81]
	v_fma_f64 v[6:7], v[37:38], v[7:8], v[9:10]
	v_fma_f64 v[8:9], v[31:32], v[19:20], -v[82:83]
	v_fma_f64 v[19:20], v[33:34], v[19:20], v[21:22]
	;; [unrolled: 2-line block ×5, first 2 shown]
	v_add_f64 v[29:30], v[68:69], v[4:5]
	v_add_f64 v[31:32], v[4:5], v[13:14]
	v_add_f64 v[33:34], v[11:12], -v[6:7]
	v_add_f64 v[35:36], v[70:71], v[11:12]
	v_add_f64 v[10:11], v[11:12], v[6:7]
	;; [unrolled: 1-line block ×4, first 2 shown]
	v_add_f64 v[60:61], v[19:20], -v[15:16]
	v_add_f64 v[62:63], v[41:42], v[19:20]
	v_add_f64 v[19:20], v[19:20], v[15:16]
	;; [unrolled: 1-line block ×4, first 2 shown]
	v_add_f64 v[37:38], v[4:5], -v[13:14]
	v_add_f64 v[72:73], v[8:9], -v[21:22]
	v_add_f64 v[8:9], v[64:65], v[17:18]
	v_add_f64 v[76:77], v[23:24], -v[27:28]
	v_add_f64 v[78:79], v[66:67], v[23:24]
	;; [unrolled: 2-line block ×3, first 2 shown]
	v_fma_f64 v[17:18], v[31:32], -0.5, v[68:69]
	v_add_f64 v[6:7], v[35:36], v[6:7]
	v_fma_f64 v[29:30], v[10:11], -0.5, v[70:71]
	v_add_f64 v[12:13], v[56:57], v[21:22]
	v_fma_f64 v[22:23], v[58:59], -0.5, v[39:40]
	v_fma_f64 v[31:32], v[19:20], -0.5, v[41:42]
	;; [unrolled: 1-line block ×4, first 2 shown]
	v_add_f64 v[14:15], v[62:63], v[15:16]
	v_add_f64 v[24:25], v[8:9], v[25:26]
	;; [unrolled: 1-line block ×3, first 2 shown]
	v_fma_f64 v[8:9], v[33:34], s[2:3], v[17:18]
	v_fma_f64 v[16:17], v[33:34], s[6:7], v[17:18]
	v_fma_f64 v[10:11], v[37:38], s[6:7], v[29:30]
	v_fma_f64 v[18:19], v[37:38], s[2:3], v[29:30]
	v_fma_f64 v[20:21], v[60:61], s[2:3], v[22:23]
	v_fma_f64 v[28:29], v[60:61], s[6:7], v[22:23]
	v_fma_f64 v[22:23], v[72:73], s[6:7], v[31:32]
	v_fma_f64 v[30:31], v[72:73], s[2:3], v[31:32]
	v_fma_f64 v[32:33], v[76:77], s[2:3], v[35:36]
	v_fma_f64 v[36:37], v[76:77], s[6:7], v[35:36]
	v_fma_f64 v[34:35], v[82:83], s[6:7], v[39:40]
	v_fma_f64 v[38:39], v[82:83], s[2:3], v[39:40]
	v_cmp_gt_u32_e64 s[2:3], s8, v48
	ds_write_b128 v90, v[4:7]
	ds_write_b128 v90, v[8:11] offset:384
	ds_write_b128 v90, v[16:19] offset:768
	ds_write_b128 v91, v[12:15]
	ds_write_b128 v91, v[20:23] offset:384
	ds_write_b128 v91, v[28:31] offset:768
	;; [unrolled: 3-line block ×3, first 2 shown]
	s_waitcnt lgkmcnt(0)
	s_barrier
	s_waitcnt lgkmcnt(0)
                                        ; implicit-def: $vgpr42_vgpr43
	s_and_saveexec_b64 s[6:7], s[2:3]
	s_cbranch_execz .LBB0_25
; %bb.24:
	ds_read_b128 v[4:7], v54
	ds_read_b128 v[8:11], v52 offset:1152
	ds_read_b128 v[16:19], v52 offset:2304
	;; [unrolled: 1-line block ×10, first 2 shown]
.LBB0_25:
	s_or_b64 exec, exec, s[6:7]
	s_waitcnt lgkmcnt(0)
	s_barrier
	s_and_saveexec_b64 s[6:7], s[2:3]
	s_cbranch_execz .LBB0_27
; %bb.26:
	v_add_u32_e32 v56, 0xffffffb8, v48
	v_cndmask_b32_e64 v56, v56, v48, s[2:3]
	v_mul_i32_i24_e32 v56, 10, v56
	v_mov_b32_e32 v57, 0
	v_lshlrev_b64 v[56:57], 4, v[56:57]
	v_mov_b32_e32 v58, s13
	v_add_co_u32_e64 v92, s[2:3], s12, v56
	v_addc_co_u32_e64 v93, s[2:3], v58, v57, s[2:3]
	global_load_dwordx4 v[56:59], v[92:93], off offset:1184
	global_load_dwordx4 v[60:63], v[92:93], off offset:1200
	;; [unrolled: 1-line block ×10, first 2 shown]
	s_mov_b32 s8, 0x9bcd5057
	s_mov_b32 s16, 0xfd768dbf
	;; [unrolled: 1-line block ×30, first 2 shown]
	s_waitcnt vmcnt(9)
	v_mul_f64 v[92:93], v[28:29], v[58:59]
	v_mul_f64 v[94:95], v[30:31], v[58:59]
	s_waitcnt vmcnt(8)
	v_mul_f64 v[101:102], v[24:25], v[62:63]
	s_waitcnt vmcnt(6)
	v_mul_f64 v[107:108], v[16:17], v[70:71]
	v_mul_f64 v[70:71], v[18:19], v[70:71]
	s_waitcnt vmcnt(5)
	v_mul_f64 v[109:110], v[8:9], v[74:75]
	s_waitcnt vmcnt(4)
	v_mul_f64 v[111:112], v[40:41], v[78:79]
	v_mul_f64 v[62:63], v[26:27], v[62:63]
	;; [unrolled: 1-line block ×6, first 2 shown]
	s_waitcnt vmcnt(3)
	v_mul_f64 v[115:116], v[0:1], v[82:83]
	v_fma_f64 v[58:59], v[30:31], v[56:57], v[92:93]
	v_fma_f64 v[56:57], v[28:29], v[56:57], -v[94:95]
	v_fma_f64 v[78:79], v[16:17], v[68:69], -v[70:71]
	v_fma_f64 v[94:95], v[10:11], v[72:73], v[109:110]
	v_fma_f64 v[16:17], v[42:43], v[76:77], v[111:112]
	s_waitcnt vmcnt(2)
	v_mul_f64 v[117:118], v[32:33], v[86:87]
	v_mul_f64 v[119:120], v[2:3], v[82:83]
	;; [unrolled: 1-line block ×3, first 2 shown]
	s_waitcnt vmcnt(1)
	v_mul_f64 v[121:122], v[12:13], v[90:91]
	s_waitcnt vmcnt(0)
	v_mul_f64 v[123:124], v[36:37], v[99:100]
	v_mul_f64 v[90:91], v[14:15], v[90:91]
	v_fma_f64 v[24:25], v[24:25], v[60:61], -v[62:63]
	v_fma_f64 v[66:67], v[22:23], v[64:65], v[103:104]
	v_fma_f64 v[62:63], v[20:21], v[64:65], -v[105:106]
	v_fma_f64 v[82:83], v[18:19], v[68:69], v[107:108]
	v_fma_f64 v[92:93], v[8:9], v[72:73], -v[74:75]
	v_fma_f64 v[18:19], v[40:41], v[76:77], -v[113:114]
	v_fma_f64 v[22:23], v[2:3], v[80:81], v[115:116]
	v_add_f64 v[105:106], v[94:95], v[16:17]
	v_add_f64 v[111:112], v[94:95], -v[16:17]
	v_mul_f64 v[99:100], v[38:39], v[99:100]
	v_fma_f64 v[20:21], v[0:1], v[80:81], -v[119:120]
	v_fma_f64 v[34:35], v[34:35], v[84:85], v[117:118]
	v_fma_f64 v[28:29], v[32:33], v[84:85], -v[86:87]
	v_fma_f64 v[84:85], v[14:15], v[88:89], v[121:122]
	;; [unrolled: 2-line block ×3, first 2 shown]
	v_add_f64 v[90:91], v[82:83], v[22:23]
	v_add_f64 v[109:110], v[92:93], -v[18:19]
	v_add_f64 v[86:87], v[82:83], -v[22:23]
	v_add_f64 v[113:114], v[92:93], v[18:19]
	v_mul_f64 v[0:1], v[105:106], s[8:9]
	v_mul_f64 v[2:3], v[111:112], s[18:19]
	v_fma_f64 v[12:13], v[36:37], v[97:98], -v[99:100]
	v_add_f64 v[76:77], v[78:79], -v[20:21]
	v_add_f64 v[68:69], v[78:79], v[20:21]
	v_add_f64 v[88:89], v[84:85], v[14:15]
	v_add_f64 v[74:75], v[84:85], -v[14:15]
	v_mul_f64 v[8:9], v[90:91], s[2:3]
	v_mul_f64 v[10:11], v[86:87], s[20:21]
	v_fma_f64 v[107:108], v[109:110], s[16:17], v[0:1]
	v_fma_f64 v[115:116], v[113:114], s[8:9], v[2:3]
	;; [unrolled: 1-line block ×3, first 2 shown]
	v_add_f64 v[70:71], v[80:81], -v[12:13]
	v_add_f64 v[42:43], v[80:81], v[12:13]
	v_add_f64 v[72:73], v[66:67], v[34:35]
	v_add_f64 v[60:61], v[66:67], -v[34:35]
	v_mul_f64 v[97:98], v[88:89], s[22:23]
	v_mul_f64 v[99:100], v[74:75], s[24:25]
	v_fma_f64 v[123:124], v[76:77], s[14:15], v[8:9]
	v_fma_f64 v[0:1], v[109:110], s[18:19], v[0:1]
	;; [unrolled: 1-line block ×3, first 2 shown]
	v_add_f64 v[107:108], v[6:7], v[107:108]
	v_add_f64 v[115:116], v[4:5], v[115:116]
	v_add_f64 v[64:65], v[62:63], -v[28:29]
	v_add_f64 v[40:41], v[62:63], v[28:29]
	v_add_f64 v[36:37], v[58:59], v[26:27]
	v_mul_f64 v[101:102], v[72:73], s[28:29]
	v_mul_f64 v[103:104], v[60:61], s[40:41]
	v_fma_f64 v[2:3], v[113:114], s[8:9], -v[2:3]
	v_fma_f64 v[8:9], v[76:77], s[20:21], v[8:9]
	v_fma_f64 v[129:130], v[70:71], s[26:27], v[97:98]
	;; [unrolled: 1-line block ×3, first 2 shown]
	v_add_f64 v[0:1], v[6:7], v[0:1]
	v_add_f64 v[107:108], v[123:124], v[107:108]
	;; [unrolled: 1-line block ×3, first 2 shown]
	v_add_f64 v[30:31], v[56:57], -v[24:25]
	v_add_f64 v[38:39], v[58:59], -v[26:27]
	v_mul_f64 v[117:118], v[36:37], s[30:31]
	v_mul_f64 v[121:122], v[105:106], s[22:23]
	v_fma_f64 v[10:11], v[68:69], s[2:3], -v[10:11]
	v_fma_f64 v[97:98], v[70:71], s[24:25], v[97:98]
	v_fma_f64 v[123:124], v[64:65], s[34:35], v[101:102]
	;; [unrolled: 1-line block ×3, first 2 shown]
	v_add_f64 v[2:3], v[4:5], v[2:3]
	v_add_f64 v[0:1], v[8:9], v[0:1]
	;; [unrolled: 1-line block ×4, first 2 shown]
	v_mul_f64 v[115:116], v[111:112], s[24:25]
	v_add_f64 v[32:33], v[56:57], v[24:25]
	v_mul_f64 v[119:120], v[38:39], s[36:37]
	v_mul_f64 v[127:128], v[90:91], s[30:31]
	v_fma_f64 v[129:130], v[30:31], s[38:39], v[117:118]
	v_fma_f64 v[99:100], v[42:43], s[22:23], -v[99:100]
	v_fma_f64 v[131:132], v[109:110], s[26:27], v[121:122]
	v_add_f64 v[2:3], v[10:11], v[2:3]
	v_add_f64 v[10:11], v[97:98], v[0:1]
	;; [unrolled: 1-line block ×4, first 2 shown]
	v_fma_f64 v[107:108], v[113:114], s[22:23], v[115:116]
	v_mul_f64 v[123:124], v[86:87], s[38:39]
	v_fma_f64 v[97:98], v[32:33], s[30:31], v[119:120]
	v_fma_f64 v[101:102], v[64:65], s[40:41], v[101:102]
	v_fma_f64 v[103:104], v[40:41], s[28:29], -v[103:104]
	v_add_f64 v[99:100], v[99:100], v[2:3]
	v_fma_f64 v[125:126], v[76:77], s[36:37], v[127:128]
	v_add_f64 v[131:132], v[6:7], v[131:132]
	v_add_f64 v[2:3], v[129:130], v[0:1]
	v_mul_f64 v[129:130], v[88:89], s[2:3]
	v_add_f64 v[107:108], v[4:5], v[107:108]
	v_fma_f64 v[133:134], v[68:69], s[30:31], v[123:124]
	v_mul_f64 v[135:136], v[74:75], s[14:15]
	v_add_f64 v[0:1], v[97:98], v[8:9]
	v_add_f64 v[8:9], v[101:102], v[10:11]
	v_fma_f64 v[10:11], v[30:31], s[36:37], v[117:118]
	v_add_f64 v[97:98], v[125:126], v[131:132]
	v_fma_f64 v[101:102], v[70:71], s[20:21], v[129:130]
	v_mul_f64 v[117:118], v[72:73], s[8:9]
	v_add_f64 v[107:108], v[133:134], v[107:108]
	v_fma_f64 v[125:126], v[42:43], s[2:3], v[135:136]
	v_add_f64 v[99:100], v[103:104], v[99:100]
	v_mul_f64 v[103:104], v[60:61], s[18:19]
	v_fma_f64 v[119:120], v[32:33], s[30:31], -v[119:120]
	v_fma_f64 v[121:122], v[109:110], s[24:25], v[121:122]
	v_add_f64 v[97:98], v[101:102], v[97:98]
	v_fma_f64 v[101:102], v[64:65], s[16:17], v[117:118]
	v_add_f64 v[10:11], v[10:11], v[8:9]
	v_add_f64 v[107:108], v[125:126], v[107:108]
	v_fma_f64 v[115:116], v[113:114], s[22:23], -v[115:116]
	v_fma_f64 v[125:126], v[40:41], s[8:9], v[103:104]
	v_fma_f64 v[127:128], v[76:77], s[38:39], v[127:128]
	v_add_f64 v[121:122], v[6:7], v[121:122]
	v_add_f64 v[8:9], v[119:120], v[99:100]
	v_mul_f64 v[119:120], v[105:106], s[30:31]
	v_add_f64 v[97:98], v[101:102], v[97:98]
	v_fma_f64 v[99:100], v[68:69], s[30:31], -v[123:124]
	v_add_f64 v[101:102], v[4:5], v[115:116]
	v_mul_f64 v[115:116], v[111:112], s[36:37]
	v_add_f64 v[107:108], v[125:126], v[107:108]
	v_add_f64 v[121:122], v[127:128], v[121:122]
	v_fma_f64 v[125:126], v[70:71], s[14:15], v[129:130]
	v_fma_f64 v[127:128], v[109:110], s[38:39], v[119:120]
	v_mul_f64 v[129:130], v[90:91], s[8:9]
	v_mul_f64 v[131:132], v[86:87], s[16:17]
	v_add_f64 v[99:100], v[99:100], v[101:102]
	v_fma_f64 v[101:102], v[113:114], s[30:31], v[115:116]
	v_fma_f64 v[133:134], v[42:43], s[2:3], -v[135:136]
	v_mul_f64 v[137:138], v[88:89], s[28:29]
	v_add_f64 v[121:122], v[125:126], v[121:122]
	v_add_f64 v[125:126], v[6:7], v[127:128]
	v_fma_f64 v[127:128], v[76:77], s[18:19], v[129:130]
	v_fma_f64 v[139:140], v[68:69], s[8:9], v[131:132]
	v_mul_f64 v[141:142], v[74:75], s[40:41]
	v_add_f64 v[101:102], v[4:5], v[101:102]
	v_add_f64 v[99:100], v[133:134], v[99:100]
	v_fma_f64 v[117:118], v[64:65], s[18:19], v[117:118]
	v_mul_f64 v[133:134], v[72:73], s[2:3]
	v_mul_f64 v[123:124], v[36:37], s[28:29]
	v_add_f64 v[125:126], v[127:128], v[125:126]
	v_fma_f64 v[127:128], v[70:71], s[34:35], v[137:138]
	v_mul_f64 v[135:136], v[38:39], s[40:41]
	v_add_f64 v[101:102], v[139:140], v[101:102]
	v_fma_f64 v[139:140], v[42:43], s[28:29], v[141:142]
	v_mul_f64 v[145:146], v[60:61], s[14:15]
	v_fma_f64 v[103:104], v[40:41], s[8:9], -v[103:104]
	v_add_f64 v[117:118], v[117:118], v[121:122]
	v_fma_f64 v[143:144], v[30:31], s[34:35], v[123:124]
	v_add_f64 v[121:122], v[127:128], v[125:126]
	v_fma_f64 v[125:126], v[64:65], s[20:21], v[133:134]
	v_mul_f64 v[127:128], v[36:37], s[22:23]
	v_fma_f64 v[147:148], v[32:33], s[28:29], v[135:136]
	v_add_f64 v[101:102], v[139:140], v[101:102]
	v_fma_f64 v[139:140], v[40:41], s[2:3], v[145:146]
	v_mul_f64 v[149:150], v[38:39], s[24:25]
	v_add_f64 v[151:152], v[103:104], v[99:100]
	v_fma_f64 v[103:104], v[30:31], s[40:41], v[123:124]
	v_fma_f64 v[123:124], v[32:33], s[28:29], -v[135:136]
	v_add_f64 v[121:122], v[125:126], v[121:122]
	v_fma_f64 v[125:126], v[30:31], s[26:27], v[127:128]
	v_add_f64 v[99:100], v[143:144], v[97:98]
	v_add_f64 v[135:136], v[139:140], v[101:102]
	v_fma_f64 v[139:140], v[32:33], s[22:23], v[149:150]
	v_add_f64 v[97:98], v[147:148], v[107:108]
	v_add_f64 v[103:104], v[103:104], v[117:118]
	v_mul_f64 v[117:118], v[105:106], s[28:29]
	v_add_f64 v[101:102], v[123:124], v[151:152]
	v_add_f64 v[107:108], v[125:126], v[121:122]
	v_mul_f64 v[121:122], v[105:106], s[2:3]
	v_mul_f64 v[123:124], v[111:112], s[34:35]
	v_mul_f64 v[111:112], v[111:112], s[14:15]
	v_add_f64 v[105:106], v[139:140], v[135:136]
	v_fma_f64 v[119:120], v[109:110], s[36:37], v[119:120]
	v_fma_f64 v[125:126], v[109:110], s[40:41], v[117:118]
	;; [unrolled: 1-line block ×3, first 2 shown]
	v_fma_f64 v[115:116], v[113:114], s[30:31], -v[115:116]
	v_fma_f64 v[135:136], v[109:110], s[20:21], v[121:122]
	v_fma_f64 v[139:140], v[113:114], s[28:29], v[123:124]
	;; [unrolled: 1-line block ×3, first 2 shown]
	v_fma_f64 v[121:122], v[113:114], s[28:29], -v[123:124]
	v_fma_f64 v[123:124], v[113:114], s[2:3], v[111:112]
	v_fma_f64 v[111:112], v[113:114], s[2:3], -v[111:112]
	v_add_f64 v[113:114], v[6:7], v[119:120]
	v_add_f64 v[115:116], v[4:5], v[115:116]
	;; [unrolled: 1-line block ×12, first 2 shown]
	v_mul_f64 v[139:140], v[90:91], s[22:23]
	v_fma_f64 v[129:130], v[76:77], s[16:17], v[129:130]
	v_mul_f64 v[94:95], v[86:87], s[24:25]
	v_fma_f64 v[131:132], v[68:69], s[8:9], -v[131:132]
	v_mul_f64 v[90:91], v[90:91], s[28:29]
	v_mul_f64 v[147:148], v[88:89], s[8:9]
	v_add_f64 v[6:7], v[6:7], v[82:83]
	v_add_f64 v[4:5], v[4:5], v[78:79]
	v_fma_f64 v[143:144], v[76:77], s[26:27], v[139:140]
	v_add_f64 v[113:114], v[129:130], v[113:114]
	v_fma_f64 v[129:130], v[70:71], s[40:41], v[137:138]
	v_add_f64 v[115:116], v[131:132], v[115:116]
	v_fma_f64 v[131:132], v[42:43], s[28:29], -v[141:142]
	v_fma_f64 v[92:93], v[76:77], s[24:25], v[139:140]
	v_add_f64 v[6:7], v[6:7], v[84:85]
	v_add_f64 v[4:5], v[4:5], v[80:81]
	;; [unrolled: 1-line block ×3, first 2 shown]
	v_mul_f64 v[143:144], v[74:75], s[16:17]
	v_add_f64 v[113:114], v[129:130], v[113:114]
	v_fma_f64 v[129:130], v[64:65], s[14:15], v[133:134]
	v_fma_f64 v[133:134], v[68:69], s[22:23], v[94:95]
	v_fma_f64 v[94:95], v[68:69], s[22:23], -v[94:95]
	v_add_f64 v[6:7], v[6:7], v[66:67]
	v_add_f64 v[4:5], v[4:5], v[62:63]
	v_mul_f64 v[80:81], v[86:87], s[34:35]
	v_mul_f64 v[84:85], v[88:89], s[30:31]
	v_fma_f64 v[66:67], v[76:77], s[34:35], v[90:91]
	v_fma_f64 v[137:138], v[70:71], s[18:19], v[147:148]
	v_mul_f64 v[141:142], v[72:73], s[30:31]
	v_add_f64 v[94:95], v[94:95], v[121:122]
	v_fma_f64 v[121:122], v[42:43], s[8:9], -v[143:144]
	v_add_f64 v[6:7], v[6:7], v[58:59]
	v_add_f64 v[4:5], v[4:5], v[56:57]
	;; [unrolled: 1-line block ×3, first 2 shown]
	v_fma_f64 v[131:132], v[40:41], s[2:3], -v[145:146]
	v_add_f64 v[92:93], v[92:93], v[117:118]
	v_fma_f64 v[117:118], v[70:71], s[16:17], v[147:148]
	v_fma_f64 v[62:63], v[68:69], s[28:29], v[80:81]
	v_add_f64 v[94:95], v[121:122], v[94:95]
	v_fma_f64 v[121:122], v[76:77], s[40:41], v[90:91]
	v_mul_f64 v[74:75], v[74:75], s[36:37]
	v_fma_f64 v[76:77], v[70:71], s[38:39], v[84:85]
	v_fma_f64 v[70:71], v[70:71], s[36:37], v[84:85]
	v_add_f64 v[58:59], v[66:67], v[109:110]
	v_add_f64 v[6:7], v[6:7], v[26:27]
	;; [unrolled: 1-line block ×3, first 2 shown]
	v_fma_f64 v[68:69], v[68:69], s[28:29], -v[80:81]
	v_add_f64 v[113:114], v[129:130], v[113:114]
	v_add_f64 v[115:116], v[131:132], v[115:116]
	v_mul_f64 v[131:132], v[60:61], s[38:39]
	v_add_f64 v[78:79], v[117:118], v[92:93]
	v_fma_f64 v[92:93], v[64:65], s[38:39], v[141:142]
	v_add_f64 v[88:89], v[121:122], v[135:136]
	v_mul_f64 v[72:73], v[72:73], s[22:23]
	v_add_f64 v[56:57], v[62:63], v[123:124]
	v_fma_f64 v[62:63], v[42:43], s[30:31], v[74:75]
	v_add_f64 v[26:27], v[70:71], v[58:59]
	v_mul_f64 v[58:59], v[60:61], s[24:25]
	v_add_f64 v[6:7], v[6:7], v[34:35]
	v_add_f64 v[4:5], v[4:5], v[28:29]
	v_mul_f64 v[28:29], v[36:37], s[2:3]
	v_fma_f64 v[34:35], v[30:31], s[24:25], v[127:128]
	v_fma_f64 v[129:130], v[42:43], s[8:9], v[143:144]
	v_fma_f64 v[42:43], v[42:43], s[30:31], -v[74:75]
	v_add_f64 v[60:61], v[68:69], v[111:112]
	v_add_f64 v[125:126], v[133:134], v[125:126]
	v_fma_f64 v[82:83], v[40:41], s[30:31], v[131:132]
	v_fma_f64 v[117:118], v[40:41], s[30:31], -v[131:132]
	v_add_f64 v[78:79], v[92:93], v[78:79]
	v_add_f64 v[66:67], v[76:77], v[88:89]
	v_fma_f64 v[76:77], v[64:65], s[24:25], v[72:73]
	v_add_f64 v[56:57], v[62:63], v[56:57]
	v_fma_f64 v[62:63], v[40:41], s[22:23], v[58:59]
	v_fma_f64 v[40:41], v[40:41], s[22:23], -v[58:59]
	v_add_f64 v[58:59], v[6:7], v[14:15]
	v_add_f64 v[4:5], v[4:5], v[12:13]
	v_fma_f64 v[12:13], v[30:31], s[20:21], v[28:29]
	v_add_f64 v[6:7], v[34:35], v[113:114]
	v_mul_f64 v[34:35], v[36:37], s[8:9]
	v_add_f64 v[42:43], v[42:43], v[60:61]
	v_mul_f64 v[60:61], v[38:39], s[20:21]
	v_mul_f64 v[38:39], v[38:39], s[18:19]
	v_add_f64 v[119:120], v[137:138], v[119:120]
	v_fma_f64 v[137:138], v[64:65], s[36:37], v[141:142]
	v_add_f64 v[125:126], v[129:130], v[125:126]
	v_fma_f64 v[24:25], v[64:65], s[26:27], v[72:73]
	v_add_f64 v[26:27], v[76:77], v[26:27]
	v_add_f64 v[14:15], v[12:13], v[78:79]
	;; [unrolled: 1-line block ×3, first 2 shown]
	v_fma_f64 v[22:23], v[30:31], s[18:19], v[34:35]
	v_add_f64 v[4:5], v[4:5], v[20:21]
	v_add_f64 v[40:41], v[40:41], v[42:43]
	v_fma_f64 v[42:43], v[32:33], s[2:3], v[60:61]
	v_fma_f64 v[58:59], v[32:33], s[2:3], -v[60:61]
	v_fma_f64 v[60:61], v[32:33], s[8:9], -v[38:39]
	v_add_f64 v[86:87], v[117:118], v[94:95]
	v_fma_f64 v[36:37], v[32:33], s[22:23], -v[149:150]
	v_add_f64 v[119:120], v[137:138], v[119:120]
	v_add_f64 v[82:83], v[82:83], v[125:126]
	v_fma_f64 v[28:29], v[30:31], s[14:15], v[28:29]
	v_fma_f64 v[30:31], v[30:31], s[16:17], v[34:35]
	v_add_f64 v[34:35], v[24:25], v[66:67]
	v_fma_f64 v[38:39], v[32:33], s[8:9], v[38:39]
	v_add_f64 v[56:57], v[62:63], v[56:57]
	v_add_f64 v[20:21], v[22:23], v[26:27]
	;; [unrolled: 1-line block ×11, first 2 shown]
	ds_write_b128 v54, v[22:25]
	ds_write_b128 v52, v[18:21] offset:1152
	ds_write_b128 v52, v[12:15] offset:2304
	;; [unrolled: 1-line block ×10, first 2 shown]
.LBB0_27:
	s_or_b64 exec, exec, s[6:7]
	s_waitcnt lgkmcnt(0)
	s_barrier
	ds_read_b128 v[4:7], v54
	s_add_u32 s8, s12, 0x3160
	s_addc_u32 s9, s13, 0
	v_sub_u32_e32 v10, v96, v49
	v_cmp_ne_u32_e64 s[2:3], 0, v48
                                        ; implicit-def: $vgpr2_vgpr3
                                        ; implicit-def: $vgpr8_vgpr9
	s_and_saveexec_b64 s[6:7], s[2:3]
	s_xor_b64 s[6:7], exec, s[6:7]
	s_cbranch_execz .LBB0_29
; %bb.28:
	v_mov_b32_e32 v49, 0
	v_lshlrev_b64 v[0:1], 4, v[48:49]
	v_mov_b32_e32 v2, s9
	v_add_co_u32_e64 v0, s[2:3], s8, v0
	v_addc_co_u32_e64 v1, s[2:3], v2, v1, s[2:3]
	global_load_dwordx4 v[11:14], v[0:1], off
	ds_read_b128 v[0:3], v10 offset:12672
	s_waitcnt lgkmcnt(0)
	v_add_f64 v[8:9], v[4:5], -v[0:1]
	v_add_f64 v[15:16], v[6:7], v[2:3]
	v_add_f64 v[2:3], v[6:7], -v[2:3]
	v_add_f64 v[0:1], v[4:5], v[0:1]
	v_mul_f64 v[6:7], v[8:9], 0.5
	v_mul_f64 v[4:5], v[15:16], 0.5
	v_mul_f64 v[2:3], v[2:3], 0.5
	s_waitcnt vmcnt(0)
	v_mul_f64 v[8:9], v[6:7], v[13:14]
	v_fma_f64 v[15:16], v[4:5], v[13:14], v[2:3]
	v_fma_f64 v[2:3], v[4:5], v[13:14], -v[2:3]
	v_fma_f64 v[17:18], v[0:1], 0.5, v[8:9]
	v_fma_f64 v[0:1], v[0:1], 0.5, -v[8:9]
	v_fma_f64 v[8:9], -v[11:12], v[6:7], v[15:16]
	v_fma_f64 v[2:3], -v[11:12], v[6:7], v[2:3]
	v_fma_f64 v[13:14], v[4:5], v[11:12], v[17:18]
	v_fma_f64 v[0:1], -v[4:5], v[11:12], v[0:1]
                                        ; implicit-def: $vgpr4_vgpr5
	ds_write_b64 v54, v[13:14]
.LBB0_29:
	s_andn2_saveexec_b64 s[2:3], s[6:7]
	s_cbranch_execz .LBB0_31
; %bb.30:
	s_waitcnt lgkmcnt(0)
	v_add_f64 v[2:3], v[4:5], v[6:7]
	ds_read_b64 v[11:12], v96 offset:6344
	v_add_f64 v[0:1], v[4:5], -v[6:7]
	v_mov_b32_e32 v8, 0
	v_mov_b32_e32 v9, 0
	s_waitcnt lgkmcnt(0)
	v_xor_b32_e32 v12, 0x80000000, v12
	ds_write_b64 v96, v[11:12] offset:6344
	ds_write_b64 v54, v[2:3]
	v_mov_b32_e32 v2, v8
	v_mov_b32_e32 v3, v9
.LBB0_31:
	s_or_b64 exec, exec, s[2:3]
	v_mov_b32_e32 v52, 0
	s_waitcnt lgkmcnt(0)
	v_lshlrev_b64 v[4:5], 4, v[51:52]
	v_mov_b32_e32 v6, s9
	v_add_co_u32_e64 v4, s[2:3], s8, v4
	v_addc_co_u32_e64 v5, s[2:3], v6, v5, s[2:3]
	global_load_dwordx4 v[4:7], v[4:5], off
	v_mov_b32_e32 v56, v52
	v_lshlrev_b64 v[11:12], 4, v[55:56]
	v_mov_b32_e32 v13, s9
	v_add_co_u32_e64 v11, s[2:3], s8, v11
	v_addc_co_u32_e64 v12, s[2:3], v13, v12, s[2:3]
	global_load_dwordx4 v[11:14], v[11:12], off
	ds_write_b64 v54, v[8:9] offset:8
	ds_write_b128 v10, v[0:3] offset:12672
	v_lshl_add_u32 v27, v51, 4, v96
	ds_read_b128 v[0:3], v27
	ds_read_b128 v[15:18], v10 offset:11264
	v_mov_b32_e32 v54, v52
	v_mov_b32_e32 v28, s9
	s_waitcnt lgkmcnt(0)
	v_add_f64 v[8:9], v[0:1], -v[15:16]
	v_add_f64 v[19:20], v[2:3], v[17:18]
	v_add_f64 v[2:3], v[2:3], -v[17:18]
	v_add_f64 v[0:1], v[0:1], v[15:16]
	v_lshlrev_b64 v[15:16], 4, v[53:54]
	v_mul_f64 v[17:18], v[8:9], 0.5
	v_mul_f64 v[19:20], v[19:20], 0.5
	;; [unrolled: 1-line block ×3, first 2 shown]
	s_waitcnt vmcnt(1)
	v_mul_f64 v[8:9], v[17:18], v[6:7]
	v_fma_f64 v[21:22], v[19:20], v[6:7], v[2:3]
	v_fma_f64 v[6:7], v[19:20], v[6:7], -v[2:3]
	v_fma_f64 v[23:24], v[0:1], 0.5, v[8:9]
	v_fma_f64 v[25:26], v[0:1], 0.5, -v[8:9]
	v_add_co_u32_e64 v0, s[2:3], s8, v15
	v_addc_co_u32_e64 v1, s[2:3], v28, v16, s[2:3]
	global_load_dwordx4 v[0:3], v[0:1], off
	v_fma_f64 v[8:9], -v[4:5], v[17:18], v[21:22]
	v_fma_f64 v[17:18], -v[4:5], v[17:18], v[6:7]
	v_fma_f64 v[6:7], v[19:20], v[4:5], v[23:24]
	v_fma_f64 v[15:16], -v[19:20], v[4:5], v[25:26]
	v_lshl_add_u32 v23, v55, 4, v96
	ds_write_b128 v27, v[6:9]
	ds_write_b128 v10, v[15:18] offset:11264
	ds_read_b128 v[4:7], v23
	ds_read_b128 v[15:18], v10 offset:9856
	s_waitcnt lgkmcnt(0)
	v_add_f64 v[8:9], v[4:5], -v[15:16]
	v_add_f64 v[19:20], v[6:7], v[17:18]
	v_add_f64 v[6:7], v[6:7], -v[17:18]
	v_add_f64 v[4:5], v[4:5], v[15:16]
	v_mul_f64 v[8:9], v[8:9], 0.5
	v_mul_f64 v[17:18], v[19:20], 0.5
	;; [unrolled: 1-line block ×3, first 2 shown]
	s_waitcnt vmcnt(1)
	v_mul_f64 v[15:16], v[8:9], v[13:14]
	v_fma_f64 v[19:20], v[17:18], v[13:14], v[6:7]
	v_fma_f64 v[13:14], v[17:18], v[13:14], -v[6:7]
	v_fma_f64 v[21:22], v[4:5], 0.5, v[15:16]
	v_fma_f64 v[15:16], v[4:5], 0.5, -v[15:16]
	v_fma_f64 v[6:7], -v[11:12], v[8:9], v[19:20]
	v_fma_f64 v[13:14], -v[11:12], v[8:9], v[13:14]
	v_fma_f64 v[4:5], v[17:18], v[11:12], v[21:22]
	v_fma_f64 v[11:12], -v[17:18], v[11:12], v[15:16]
	v_lshl_add_u32 v17, v53, 4, v96
	ds_write_b128 v23, v[4:7]
	ds_write_b128 v10, v[11:14] offset:9856
	ds_read_b128 v[4:7], v17
	ds_read_b128 v[11:14], v10 offset:8448
	s_waitcnt lgkmcnt(0)
	v_add_f64 v[8:9], v[4:5], -v[11:12]
	v_add_f64 v[15:16], v[6:7], v[13:14]
	v_add_f64 v[6:7], v[6:7], -v[13:14]
	v_add_f64 v[4:5], v[4:5], v[11:12]
	v_mul_f64 v[8:9], v[8:9], 0.5
	v_mul_f64 v[13:14], v[15:16], 0.5
	v_mul_f64 v[6:7], v[6:7], 0.5
	s_waitcnt vmcnt(0)
	v_mul_f64 v[11:12], v[8:9], v[2:3]
	v_fma_f64 v[15:16], v[13:14], v[2:3], v[6:7]
	v_fma_f64 v[2:3], v[13:14], v[2:3], -v[6:7]
	v_fma_f64 v[6:7], v[4:5], 0.5, v[11:12]
	v_fma_f64 v[11:12], v[4:5], 0.5, -v[11:12]
	v_fma_f64 v[4:5], -v[0:1], v[8:9], v[15:16]
	v_fma_f64 v[8:9], -v[0:1], v[8:9], v[2:3]
	v_fma_f64 v[2:3], v[13:14], v[0:1], v[6:7]
	v_fma_f64 v[6:7], -v[13:14], v[0:1], v[11:12]
	ds_write_b128 v17, v[2:5]
	ds_write_b128 v10, v[6:9] offset:8448
	s_and_saveexec_b64 s[2:3], vcc
	s_cbranch_execz .LBB0_33
; %bb.32:
	v_mov_b32_e32 v51, v52
	v_lshlrev_b64 v[0:1], 4, v[50:51]
	v_mov_b32_e32 v2, s9
	v_add_co_u32_e32 v0, vcc, s8, v0
	v_addc_co_u32_e32 v1, vcc, v2, v1, vcc
	global_load_dwordx4 v[0:3], v[0:1], off
	v_lshl_add_u32 v17, v50, 4, v96
	ds_read_b128 v[4:7], v17
	ds_read_b128 v[11:14], v10 offset:7040
	s_waitcnt lgkmcnt(0)
	v_add_f64 v[8:9], v[4:5], -v[11:12]
	v_add_f64 v[15:16], v[6:7], v[13:14]
	v_add_f64 v[6:7], v[6:7], -v[13:14]
	v_add_f64 v[4:5], v[4:5], v[11:12]
	v_mul_f64 v[8:9], v[8:9], 0.5
	v_mul_f64 v[13:14], v[15:16], 0.5
	;; [unrolled: 1-line block ×3, first 2 shown]
	s_waitcnt vmcnt(0)
	v_mul_f64 v[11:12], v[8:9], v[2:3]
	v_fma_f64 v[15:16], v[13:14], v[2:3], v[6:7]
	v_fma_f64 v[2:3], v[13:14], v[2:3], -v[6:7]
	v_fma_f64 v[6:7], v[4:5], 0.5, v[11:12]
	v_fma_f64 v[11:12], v[4:5], 0.5, -v[11:12]
	v_fma_f64 v[4:5], -v[0:1], v[8:9], v[15:16]
	v_fma_f64 v[8:9], -v[0:1], v[8:9], v[2:3]
	v_fma_f64 v[2:3], v[13:14], v[0:1], v[6:7]
	v_fma_f64 v[6:7], -v[13:14], v[0:1], v[11:12]
	ds_write_b128 v17, v[2:5]
	ds_write_b128 v10, v[6:9] offset:7040
.LBB0_33:
	s_or_b64 exec, exec, s[2:3]
	s_waitcnt lgkmcnt(0)
	s_barrier
	s_and_saveexec_b64 s[2:3], s[0:1]
	s_cbranch_execz .LBB0_36
; %bb.34:
	v_mul_lo_u32 v0, s5, v46
	v_mul_lo_u32 v3, s4, v47
	v_mad_u64_u32 v[1:2], s[0:1], s4, v46, 0
	v_mov_b32_e32 v7, s11
	v_mov_b32_e32 v49, 0
	v_add3_u32 v2, v2, v3, v0
	v_lshlrev_b64 v[1:2], 4, v[1:2]
	v_lshl_add_u32 v0, v48, 4, v96
	v_add_co_u32_e32 v1, vcc, s10, v1
	v_addc_co_u32_e32 v9, vcc, v7, v2, vcc
	v_lshlrev_b64 v[7:8], 4, v[44:45]
	ds_read_b128 v[3:6], v0
	v_add_co_u32_e32 v2, vcc, v1, v7
	v_addc_co_u32_e32 v1, vcc, v9, v8, vcc
	v_lshlrev_b64 v[7:8], 4, v[48:49]
	s_movk_i32 s0, 0x57
	v_add_co_u32_e32 v11, vcc, v2, v7
	v_addc_co_u32_e32 v12, vcc, v1, v8, vcc
	ds_read_b128 v[7:10], v0 offset:1408
	s_waitcnt lgkmcnt(1)
	global_store_dwordx4 v[11:12], v[3:6], off
	s_nop 0
	v_add_u32_e32 v3, 0x58, v48
	v_mov_b32_e32 v4, v49
	v_lshlrev_b64 v[3:4], 4, v[3:4]
	v_add_co_u32_e32 v3, vcc, v2, v3
	v_addc_co_u32_e32 v4, vcc, v1, v4, vcc
	s_waitcnt lgkmcnt(0)
	global_store_dwordx4 v[3:4], v[7:10], off
	ds_read_b128 v[3:6], v0 offset:2816
	v_add_u32_e32 v7, 0xb0, v48
	v_mov_b32_e32 v8, v49
	v_lshlrev_b64 v[7:8], 4, v[7:8]
	v_add_co_u32_e32 v11, vcc, v2, v7
	v_addc_co_u32_e32 v12, vcc, v1, v8, vcc
	ds_read_b128 v[7:10], v0 offset:4224
	s_waitcnt lgkmcnt(1)
	global_store_dwordx4 v[11:12], v[3:6], off
	s_nop 0
	v_add_u32_e32 v3, 0x108, v48
	v_mov_b32_e32 v4, v49
	v_lshlrev_b64 v[3:4], 4, v[3:4]
	v_add_co_u32_e32 v3, vcc, v2, v3
	v_addc_co_u32_e32 v4, vcc, v1, v4, vcc
	s_waitcnt lgkmcnt(0)
	global_store_dwordx4 v[3:4], v[7:10], off
	ds_read_b128 v[3:6], v0 offset:5632
	v_add_u32_e32 v7, 0x160, v48
	v_mov_b32_e32 v8, v49
	v_lshlrev_b64 v[7:8], 4, v[7:8]
	v_add_co_u32_e32 v11, vcc, v2, v7
	v_addc_co_u32_e32 v12, vcc, v1, v8, vcc
	ds_read_b128 v[7:10], v0 offset:7040
	s_waitcnt lgkmcnt(1)
	global_store_dwordx4 v[11:12], v[3:6], off
	s_nop 0
	v_add_u32_e32 v3, 0x1b8, v48
	v_mov_b32_e32 v4, v49
	v_lshlrev_b64 v[3:4], 4, v[3:4]
	v_add_co_u32_e32 v3, vcc, v2, v3
	v_addc_co_u32_e32 v4, vcc, v1, v4, vcc
	s_waitcnt lgkmcnt(0)
	global_store_dwordx4 v[3:4], v[7:10], off
	ds_read_b128 v[3:6], v0 offset:8448
	v_add_u32_e32 v7, 0x210, v48
	v_mov_b32_e32 v8, v49
	v_lshlrev_b64 v[7:8], 4, v[7:8]
	v_add_co_u32_e32 v11, vcc, v2, v7
	v_addc_co_u32_e32 v12, vcc, v1, v8, vcc
	ds_read_b128 v[7:10], v0 offset:9856
	s_waitcnt lgkmcnt(1)
	global_store_dwordx4 v[11:12], v[3:6], off
	s_nop 0
	v_add_u32_e32 v3, 0x268, v48
	v_mov_b32_e32 v4, v49
	v_lshlrev_b64 v[3:4], 4, v[3:4]
	v_add_co_u32_e32 v3, vcc, v2, v3
	v_addc_co_u32_e32 v4, vcc, v1, v4, vcc
	s_waitcnt lgkmcnt(0)
	global_store_dwordx4 v[3:4], v[7:10], off
	ds_read_b128 v[3:6], v0 offset:11264
	v_add_u32_e32 v7, 0x2c0, v48
	v_mov_b32_e32 v8, v49
	v_lshlrev_b64 v[7:8], 4, v[7:8]
	v_add_co_u32_e32 v7, vcc, v2, v7
	v_addc_co_u32_e32 v8, vcc, v1, v8, vcc
	v_cmp_eq_u32_e32 vcc, s0, v48
	s_waitcnt lgkmcnt(0)
	global_store_dwordx4 v[7:8], v[3:6], off
	s_and_b64 exec, exec, vcc
	s_cbranch_execz .LBB0_36
; %bb.35:
	ds_read_b128 v[3:6], v0 offset:11280
	v_add_co_u32_e32 v0, vcc, 0x3000, v2
	v_addc_co_u32_e32 v1, vcc, 0, v1, vcc
	s_waitcnt lgkmcnt(0)
	global_store_dwordx4 v[0:1], v[3:6], off offset:384
.LBB0_36:
	s_endpgm
	.section	.rodata,"a",@progbits
	.p2align	6, 0x0
	.amdhsa_kernel fft_rtc_fwd_len792_factors_2_2_2_3_3_11_wgs_176_tpt_88_dp_op_CI_CI_unitstride_sbrr_R2C_dirReg
		.amdhsa_group_segment_fixed_size 0
		.amdhsa_private_segment_fixed_size 0
		.amdhsa_kernarg_size 104
		.amdhsa_user_sgpr_count 6
		.amdhsa_user_sgpr_private_segment_buffer 1
		.amdhsa_user_sgpr_dispatch_ptr 0
		.amdhsa_user_sgpr_queue_ptr 0
		.amdhsa_user_sgpr_kernarg_segment_ptr 1
		.amdhsa_user_sgpr_dispatch_id 0
		.amdhsa_user_sgpr_flat_scratch_init 0
		.amdhsa_user_sgpr_private_segment_size 0
		.amdhsa_uses_dynamic_stack 0
		.amdhsa_system_sgpr_private_segment_wavefront_offset 0
		.amdhsa_system_sgpr_workgroup_id_x 1
		.amdhsa_system_sgpr_workgroup_id_y 0
		.amdhsa_system_sgpr_workgroup_id_z 0
		.amdhsa_system_sgpr_workgroup_info 0
		.amdhsa_system_vgpr_workitem_id 0
		.amdhsa_next_free_vgpr 153
		.amdhsa_next_free_sgpr 42
		.amdhsa_reserve_vcc 1
		.amdhsa_reserve_flat_scratch 0
		.amdhsa_float_round_mode_32 0
		.amdhsa_float_round_mode_16_64 0
		.amdhsa_float_denorm_mode_32 3
		.amdhsa_float_denorm_mode_16_64 3
		.amdhsa_dx10_clamp 1
		.amdhsa_ieee_mode 1
		.amdhsa_fp16_overflow 0
		.amdhsa_exception_fp_ieee_invalid_op 0
		.amdhsa_exception_fp_denorm_src 0
		.amdhsa_exception_fp_ieee_div_zero 0
		.amdhsa_exception_fp_ieee_overflow 0
		.amdhsa_exception_fp_ieee_underflow 0
		.amdhsa_exception_fp_ieee_inexact 0
		.amdhsa_exception_int_div_zero 0
	.end_amdhsa_kernel
	.text
.Lfunc_end0:
	.size	fft_rtc_fwd_len792_factors_2_2_2_3_3_11_wgs_176_tpt_88_dp_op_CI_CI_unitstride_sbrr_R2C_dirReg, .Lfunc_end0-fft_rtc_fwd_len792_factors_2_2_2_3_3_11_wgs_176_tpt_88_dp_op_CI_CI_unitstride_sbrr_R2C_dirReg
                                        ; -- End function
	.section	.AMDGPU.csdata,"",@progbits
; Kernel info:
; codeLenInByte = 10216
; NumSgprs: 46
; NumVgprs: 153
; ScratchSize: 0
; MemoryBound: 0
; FloatMode: 240
; IeeeMode: 1
; LDSByteSize: 0 bytes/workgroup (compile time only)
; SGPRBlocks: 5
; VGPRBlocks: 38
; NumSGPRsForWavesPerEU: 46
; NumVGPRsForWavesPerEU: 153
; Occupancy: 1
; WaveLimiterHint : 1
; COMPUTE_PGM_RSRC2:SCRATCH_EN: 0
; COMPUTE_PGM_RSRC2:USER_SGPR: 6
; COMPUTE_PGM_RSRC2:TRAP_HANDLER: 0
; COMPUTE_PGM_RSRC2:TGID_X_EN: 1
; COMPUTE_PGM_RSRC2:TGID_Y_EN: 0
; COMPUTE_PGM_RSRC2:TGID_Z_EN: 0
; COMPUTE_PGM_RSRC2:TIDIG_COMP_CNT: 0
	.type	__hip_cuid_e1a2c2166c9c9b6,@object ; @__hip_cuid_e1a2c2166c9c9b6
	.section	.bss,"aw",@nobits
	.globl	__hip_cuid_e1a2c2166c9c9b6
__hip_cuid_e1a2c2166c9c9b6:
	.byte	0                               ; 0x0
	.size	__hip_cuid_e1a2c2166c9c9b6, 1

	.ident	"AMD clang version 19.0.0git (https://github.com/RadeonOpenCompute/llvm-project roc-6.4.0 25133 c7fe45cf4b819c5991fe208aaa96edf142730f1d)"
	.section	".note.GNU-stack","",@progbits
	.addrsig
	.addrsig_sym __hip_cuid_e1a2c2166c9c9b6
	.amdgpu_metadata
---
amdhsa.kernels:
  - .args:
      - .actual_access:  read_only
        .address_space:  global
        .offset:         0
        .size:           8
        .value_kind:     global_buffer
      - .offset:         8
        .size:           8
        .value_kind:     by_value
      - .actual_access:  read_only
        .address_space:  global
        .offset:         16
        .size:           8
        .value_kind:     global_buffer
      - .actual_access:  read_only
        .address_space:  global
        .offset:         24
        .size:           8
        .value_kind:     global_buffer
      - .actual_access:  read_only
        .address_space:  global
        .offset:         32
        .size:           8
        .value_kind:     global_buffer
      - .offset:         40
        .size:           8
        .value_kind:     by_value
      - .actual_access:  read_only
        .address_space:  global
        .offset:         48
        .size:           8
        .value_kind:     global_buffer
      - .actual_access:  read_only
        .address_space:  global
        .offset:         56
        .size:           8
        .value_kind:     global_buffer
      - .offset:         64
        .size:           4
        .value_kind:     by_value
      - .actual_access:  read_only
        .address_space:  global
        .offset:         72
        .size:           8
        .value_kind:     global_buffer
      - .actual_access:  read_only
        .address_space:  global
        .offset:         80
        .size:           8
        .value_kind:     global_buffer
      - .actual_access:  read_only
        .address_space:  global
        .offset:         88
        .size:           8
        .value_kind:     global_buffer
      - .actual_access:  write_only
        .address_space:  global
        .offset:         96
        .size:           8
        .value_kind:     global_buffer
    .group_segment_fixed_size: 0
    .kernarg_segment_align: 8
    .kernarg_segment_size: 104
    .language:       OpenCL C
    .language_version:
      - 2
      - 0
    .max_flat_workgroup_size: 176
    .name:           fft_rtc_fwd_len792_factors_2_2_2_3_3_11_wgs_176_tpt_88_dp_op_CI_CI_unitstride_sbrr_R2C_dirReg
    .private_segment_fixed_size: 0
    .sgpr_count:     46
    .sgpr_spill_count: 0
    .symbol:         fft_rtc_fwd_len792_factors_2_2_2_3_3_11_wgs_176_tpt_88_dp_op_CI_CI_unitstride_sbrr_R2C_dirReg.kd
    .uniform_work_group_size: 1
    .uses_dynamic_stack: false
    .vgpr_count:     153
    .vgpr_spill_count: 0
    .wavefront_size: 64
amdhsa.target:   amdgcn-amd-amdhsa--gfx906
amdhsa.version:
  - 1
  - 2
...

	.end_amdgpu_metadata
